;; amdgpu-corpus repo=ROCm/rocFFT kind=compiled arch=gfx906 opt=O3
	.text
	.amdgcn_target "amdgcn-amd-amdhsa--gfx906"
	.amdhsa_code_object_version 6
	.protected	fft_rtc_back_len1750_factors_2_5_5_7_5_wgs_175_tpt_175_halfLds_half_op_CI_CI_unitstride_sbrr_R2C_dirReg ; -- Begin function fft_rtc_back_len1750_factors_2_5_5_7_5_wgs_175_tpt_175_halfLds_half_op_CI_CI_unitstride_sbrr_R2C_dirReg
	.globl	fft_rtc_back_len1750_factors_2_5_5_7_5_wgs_175_tpt_175_halfLds_half_op_CI_CI_unitstride_sbrr_R2C_dirReg
	.p2align	8
	.type	fft_rtc_back_len1750_factors_2_5_5_7_5_wgs_175_tpt_175_halfLds_half_op_CI_CI_unitstride_sbrr_R2C_dirReg,@function
fft_rtc_back_len1750_factors_2_5_5_7_5_wgs_175_tpt_175_halfLds_half_op_CI_CI_unitstride_sbrr_R2C_dirReg: ; @fft_rtc_back_len1750_factors_2_5_5_7_5_wgs_175_tpt_175_halfLds_half_op_CI_CI_unitstride_sbrr_R2C_dirReg
; %bb.0:
	s_load_dwordx4 s[8:11], s[4:5], 0x58
	s_load_dwordx4 s[12:15], s[4:5], 0x0
	;; [unrolled: 1-line block ×3, first 2 shown]
	v_mul_u32_u24_e32 v1, 0x177, v0
	v_mov_b32_e32 v5, 0
	v_mov_b32_e32 v11, 0
	s_waitcnt lgkmcnt(0)
	v_cmp_lt_u64_e64 s[0:1], s[14:15], 2
	v_add_u32_sdwa v7, s6, v1 dst_sel:DWORD dst_unused:UNUSED_PAD src0_sel:DWORD src1_sel:WORD_1
	v_mov_b32_e32 v8, v5
	s_and_b64 vcc, exec, s[0:1]
	v_mov_b32_e32 v12, 0
	s_cbranch_vccnz .LBB0_8
; %bb.1:
	s_load_dwordx2 s[0:1], s[4:5], 0x10
	s_add_u32 s2, s18, 8
	s_addc_u32 s3, s19, 0
	s_add_u32 s6, s16, 8
	s_addc_u32 s7, s17, 0
	v_mov_b32_e32 v11, 0
	s_waitcnt lgkmcnt(0)
	s_add_u32 s20, s0, 8
	v_mov_b32_e32 v12, 0
	v_mov_b32_e32 v1, v11
	s_addc_u32 s21, s1, 0
	s_mov_b64 s[22:23], 1
	v_mov_b32_e32 v2, v12
.LBB0_2:                                ; =>This Inner Loop Header: Depth=1
	s_load_dwordx2 s[24:25], s[20:21], 0x0
                                        ; implicit-def: $vgpr3_vgpr4
	s_waitcnt lgkmcnt(0)
	v_or_b32_e32 v6, s25, v8
	v_cmp_ne_u64_e32 vcc, 0, v[5:6]
	s_and_saveexec_b64 s[0:1], vcc
	s_xor_b64 s[26:27], exec, s[0:1]
	s_cbranch_execz .LBB0_4
; %bb.3:                                ;   in Loop: Header=BB0_2 Depth=1
	v_cvt_f32_u32_e32 v3, s24
	v_cvt_f32_u32_e32 v4, s25
	s_sub_u32 s0, 0, s24
	s_subb_u32 s1, 0, s25
	v_mac_f32_e32 v3, 0x4f800000, v4
	v_rcp_f32_e32 v3, v3
	v_mul_f32_e32 v3, 0x5f7ffffc, v3
	v_mul_f32_e32 v4, 0x2f800000, v3
	v_trunc_f32_e32 v4, v4
	v_mac_f32_e32 v3, 0xcf800000, v4
	v_cvt_u32_f32_e32 v4, v4
	v_cvt_u32_f32_e32 v3, v3
	v_mul_lo_u32 v6, s0, v4
	v_mul_hi_u32 v9, s0, v3
	v_mul_lo_u32 v13, s1, v3
	v_mul_lo_u32 v10, s0, v3
	v_add_u32_e32 v6, v9, v6
	v_add_u32_e32 v6, v6, v13
	v_mul_hi_u32 v9, v3, v10
	v_mul_lo_u32 v13, v3, v6
	v_mul_hi_u32 v15, v3, v6
	v_mul_hi_u32 v14, v4, v10
	v_mul_lo_u32 v10, v4, v10
	v_mul_hi_u32 v16, v4, v6
	v_add_co_u32_e32 v9, vcc, v9, v13
	v_addc_co_u32_e32 v13, vcc, 0, v15, vcc
	v_mul_lo_u32 v6, v4, v6
	v_add_co_u32_e32 v9, vcc, v9, v10
	v_addc_co_u32_e32 v9, vcc, v13, v14, vcc
	v_addc_co_u32_e32 v10, vcc, 0, v16, vcc
	v_add_co_u32_e32 v6, vcc, v9, v6
	v_addc_co_u32_e32 v9, vcc, 0, v10, vcc
	v_add_co_u32_e32 v3, vcc, v3, v6
	v_addc_co_u32_e32 v4, vcc, v4, v9, vcc
	v_mul_lo_u32 v6, s0, v4
	v_mul_hi_u32 v9, s0, v3
	v_mul_lo_u32 v10, s1, v3
	v_mul_lo_u32 v13, s0, v3
	v_add_u32_e32 v6, v9, v6
	v_add_u32_e32 v6, v6, v10
	v_mul_lo_u32 v14, v3, v6
	v_mul_hi_u32 v15, v3, v13
	v_mul_hi_u32 v16, v3, v6
	v_mul_hi_u32 v10, v4, v13
	v_mul_lo_u32 v13, v4, v13
	v_mul_hi_u32 v9, v4, v6
	v_add_co_u32_e32 v14, vcc, v15, v14
	v_addc_co_u32_e32 v15, vcc, 0, v16, vcc
	v_mul_lo_u32 v6, v4, v6
	v_add_co_u32_e32 v13, vcc, v14, v13
	v_addc_co_u32_e32 v10, vcc, v15, v10, vcc
	v_addc_co_u32_e32 v9, vcc, 0, v9, vcc
	v_add_co_u32_e32 v6, vcc, v10, v6
	v_addc_co_u32_e32 v9, vcc, 0, v9, vcc
	v_add_co_u32_e32 v6, vcc, v3, v6
	v_addc_co_u32_e32 v9, vcc, v4, v9, vcc
	v_mad_u64_u32 v[3:4], s[0:1], v7, v9, 0
	v_mul_hi_u32 v10, v7, v6
	v_add_co_u32_e32 v13, vcc, v10, v3
	v_addc_co_u32_e32 v14, vcc, 0, v4, vcc
	v_mad_u64_u32 v[3:4], s[0:1], v8, v6, 0
	v_mad_u64_u32 v[9:10], s[0:1], v8, v9, 0
	v_add_co_u32_e32 v3, vcc, v13, v3
	v_addc_co_u32_e32 v3, vcc, v14, v4, vcc
	v_addc_co_u32_e32 v4, vcc, 0, v10, vcc
	v_add_co_u32_e32 v6, vcc, v3, v9
	v_addc_co_u32_e32 v9, vcc, 0, v4, vcc
	v_mul_lo_u32 v10, s25, v6
	v_mul_lo_u32 v13, s24, v9
	v_mad_u64_u32 v[3:4], s[0:1], s24, v6, 0
	v_add3_u32 v4, v4, v13, v10
	v_sub_u32_e32 v10, v8, v4
	v_mov_b32_e32 v13, s25
	v_sub_co_u32_e32 v3, vcc, v7, v3
	v_subb_co_u32_e64 v10, s[0:1], v10, v13, vcc
	v_subrev_co_u32_e64 v13, s[0:1], s24, v3
	v_subbrev_co_u32_e64 v10, s[0:1], 0, v10, s[0:1]
	v_cmp_le_u32_e64 s[0:1], s25, v10
	v_cndmask_b32_e64 v14, 0, -1, s[0:1]
	v_cmp_le_u32_e64 s[0:1], s24, v13
	v_cndmask_b32_e64 v13, 0, -1, s[0:1]
	v_cmp_eq_u32_e64 s[0:1], s25, v10
	v_cndmask_b32_e64 v10, v14, v13, s[0:1]
	v_add_co_u32_e64 v13, s[0:1], 2, v6
	v_addc_co_u32_e64 v14, s[0:1], 0, v9, s[0:1]
	v_add_co_u32_e64 v15, s[0:1], 1, v6
	v_addc_co_u32_e64 v16, s[0:1], 0, v9, s[0:1]
	v_subb_co_u32_e32 v4, vcc, v8, v4, vcc
	v_cmp_ne_u32_e64 s[0:1], 0, v10
	v_cmp_le_u32_e32 vcc, s25, v4
	v_cndmask_b32_e64 v10, v16, v14, s[0:1]
	v_cndmask_b32_e64 v14, 0, -1, vcc
	v_cmp_le_u32_e32 vcc, s24, v3
	v_cndmask_b32_e64 v3, 0, -1, vcc
	v_cmp_eq_u32_e32 vcc, s25, v4
	v_cndmask_b32_e32 v3, v14, v3, vcc
	v_cmp_ne_u32_e32 vcc, 0, v3
	v_cndmask_b32_e64 v3, v15, v13, s[0:1]
	v_cndmask_b32_e32 v4, v9, v10, vcc
	v_cndmask_b32_e32 v3, v6, v3, vcc
.LBB0_4:                                ;   in Loop: Header=BB0_2 Depth=1
	s_andn2_saveexec_b64 s[0:1], s[26:27]
	s_cbranch_execz .LBB0_6
; %bb.5:                                ;   in Loop: Header=BB0_2 Depth=1
	v_cvt_f32_u32_e32 v3, s24
	s_sub_i32 s26, 0, s24
	v_rcp_iflag_f32_e32 v3, v3
	v_mul_f32_e32 v3, 0x4f7ffffe, v3
	v_cvt_u32_f32_e32 v3, v3
	v_mul_lo_u32 v4, s26, v3
	v_mul_hi_u32 v4, v3, v4
	v_add_u32_e32 v3, v3, v4
	v_mul_hi_u32 v3, v7, v3
	v_mul_lo_u32 v4, v3, s24
	v_add_u32_e32 v6, 1, v3
	v_sub_u32_e32 v4, v7, v4
	v_subrev_u32_e32 v9, s24, v4
	v_cmp_le_u32_e32 vcc, s24, v4
	v_cndmask_b32_e32 v4, v4, v9, vcc
	v_cndmask_b32_e32 v3, v3, v6, vcc
	v_add_u32_e32 v6, 1, v3
	v_cmp_le_u32_e32 vcc, s24, v4
	v_cndmask_b32_e32 v3, v3, v6, vcc
	v_mov_b32_e32 v4, v5
.LBB0_6:                                ;   in Loop: Header=BB0_2 Depth=1
	s_or_b64 exec, exec, s[0:1]
	v_mul_lo_u32 v6, v4, s24
	v_mul_lo_u32 v13, v3, s25
	v_mad_u64_u32 v[9:10], s[0:1], v3, s24, 0
	s_load_dwordx2 s[0:1], s[6:7], 0x0
	s_load_dwordx2 s[24:25], s[2:3], 0x0
	v_add3_u32 v6, v10, v13, v6
	v_sub_co_u32_e32 v7, vcc, v7, v9
	v_subb_co_u32_e32 v6, vcc, v8, v6, vcc
	s_waitcnt lgkmcnt(0)
	v_mul_lo_u32 v8, s0, v6
	v_mul_lo_u32 v9, s1, v7
	v_mad_u64_u32 v[11:12], s[0:1], s0, v7, v[11:12]
	v_mul_lo_u32 v6, s24, v6
	v_mul_lo_u32 v10, s25, v7
	v_mad_u64_u32 v[1:2], s[0:1], s24, v7, v[1:2]
	s_add_u32 s22, s22, 1
	s_addc_u32 s23, s23, 0
	s_add_u32 s2, s2, 8
	v_add3_u32 v2, v10, v2, v6
	s_addc_u32 s3, s3, 0
	v_mov_b32_e32 v6, s14
	s_add_u32 s6, s6, 8
	v_mov_b32_e32 v7, s15
	s_addc_u32 s7, s7, 0
	v_cmp_ge_u64_e32 vcc, s[22:23], v[6:7]
	s_add_u32 s20, s20, 8
	v_add3_u32 v12, v9, v12, v8
	s_addc_u32 s21, s21, 0
	s_cbranch_vccnz .LBB0_9
; %bb.7:                                ;   in Loop: Header=BB0_2 Depth=1
	v_mov_b32_e32 v8, v4
	v_mov_b32_e32 v7, v3
	s_branch .LBB0_2
.LBB0_8:
	v_mov_b32_e32 v1, v11
	v_mov_b32_e32 v3, v7
	;; [unrolled: 1-line block ×4, first 2 shown]
.LBB0_9:
	s_load_dwordx2 s[4:5], s[4:5], 0x28
	s_lshl_b64 s[6:7], s[14:15], 3
	s_add_u32 s2, s18, s6
	s_addc_u32 s3, s19, s7
                                        ; implicit-def: $vgpr5
                                        ; implicit-def: $vgpr7
                                        ; implicit-def: $vgpr10
                                        ; implicit-def: $vgpr9
	s_waitcnt lgkmcnt(0)
	v_cmp_gt_u64_e64 s[0:1], s[4:5], v[3:4]
	v_cmp_le_u64_e32 vcc, s[4:5], v[3:4]
	s_and_saveexec_b64 s[4:5], vcc
	s_xor_b64 s[4:5], exec, s[4:5]
; %bb.10:
	s_mov_b32 s14, 0x1767dcf
	v_mul_hi_u32 v5, v0, s14
                                        ; implicit-def: $vgpr11_vgpr12
	v_mul_u32_u24_e32 v5, 0xaf, v5
	v_sub_u32_e32 v5, v0, v5
	v_add_u32_e32 v7, 0xaf, v5
	v_add_u32_e32 v10, 0x15e, v5
	;; [unrolled: 1-line block ×3, first 2 shown]
                                        ; implicit-def: $vgpr0
; %bb.11:
	s_andn2_saveexec_b64 s[4:5], s[4:5]
	s_cbranch_execz .LBB0_13
; %bb.12:
	s_add_u32 s6, s16, s6
	s_addc_u32 s7, s17, s7
	s_load_dwordx2 s[6:7], s[6:7], 0x0
	s_mov_b32 s14, 0x1767dcf
	v_mul_hi_u32 v5, v0, s14
	s_waitcnt lgkmcnt(0)
	v_mul_lo_u32 v8, s7, v3
	v_mul_lo_u32 v9, s6, v4
	v_mad_u64_u32 v[6:7], s[6:7], s6, v3, 0
	v_mul_u32_u24_e32 v5, 0xaf, v5
	v_sub_u32_e32 v5, v0, v5
	v_add3_u32 v7, v7, v9, v8
	v_lshlrev_b64 v[6:7], 2, v[6:7]
	v_mov_b32_e32 v0, s9
	v_add_co_u32_e32 v8, vcc, s8, v6
	v_addc_co_u32_e32 v0, vcc, v0, v7, vcc
	v_lshlrev_b64 v[6:7], 2, v[11:12]
	v_lshlrev_b32_e32 v11, 2, v5
	v_add_co_u32_e32 v6, vcc, v8, v6
	v_addc_co_u32_e32 v0, vcc, v0, v7, vcc
	v_add_co_u32_e32 v6, vcc, v6, v11
	v_addc_co_u32_e32 v7, vcc, 0, v0, vcc
	;; [unrolled: 2-line block ×3, first 2 shown]
	global_load_dword v0, v[6:7], off
	global_load_dword v12, v[6:7], off offset:700
	global_load_dword v13, v[6:7], off offset:1400
	;; [unrolled: 1-line block ×9, first 2 shown]
	v_add_u32_e32 v6, 0, v11
	v_add_u32_e32 v7, 0xaf, v5
	;; [unrolled: 1-line block ×8, first 2 shown]
	s_waitcnt vmcnt(6)
	ds_write2_b32 v8, v13, v14 offset0:30 offset1:205
	ds_write2_b32 v6, v0, v12 offset1:175
	s_waitcnt vmcnt(4)
	ds_write2_b32 v11, v15, v16 offset0:60 offset1:235
	s_waitcnt vmcnt(2)
	ds_write2_b32 v21, v17, v18 offset0:26 offset1:201
	;; [unrolled: 2-line block ×3, first 2 shown]
.LBB0_13:
	s_or_b64 exec, exec, s[4:5]
	v_lshlrev_b32_e32 v11, 2, v5
	v_add_u32_e32 v0, 0, v11
	v_add_u32_e32 v6, 0xa00, v0
	s_load_dwordx2 s[2:3], s[2:3], 0x0
	s_waitcnt lgkmcnt(0)
	s_barrier
	ds_read2_b32 v[13:14], v6 offset0:60 offset1:235
	v_add_u32_e32 v6, 0x1500, v0
	ds_read2_b32 v[15:16], v6 offset0:56 offset1:231
	ds_read2_b32 v[17:18], v0 offset1:175
	v_add_u32_e32 v6, 0x500, v0
	ds_read2_b32 v[19:20], v6 offset0:30 offset1:205
	v_add_u32_e32 v6, 0x1000, v0
	ds_read2_b32 v[21:22], v6 offset0:26 offset1:201
	s_waitcnt lgkmcnt(2)
	v_pk_add_f16 v6, v17, v14 neg_lo:[0,1] neg_hi:[0,1]
	v_add_u32_e32 v8, v0, v11
	v_pk_fma_f16 v12, v17, 2.0, v6 op_sel_hi:[1,0,1] neg_lo:[0,0,1] neg_hi:[0,0,1]
	s_waitcnt lgkmcnt(0)
	s_barrier
	ds_write2_b32 v8, v12, v6 offset1:1
	v_pk_add_f16 v6, v18, v21 neg_lo:[0,1] neg_hi:[0,1]
	v_pk_fma_f16 v14, v18, 2.0, v6 op_sel_hi:[1,0,1] neg_lo:[0,0,1] neg_hi:[0,0,1]
	v_lshl_add_u32 v12, v7, 3, 0
	ds_write2_b32 v12, v14, v6 offset1:1
	v_pk_add_f16 v14, v19, v22 neg_lo:[0,1] neg_hi:[0,1]
	v_lshl_add_u32 v6, v10, 3, 0
	v_pk_fma_f16 v17, v19, 2.0, v14 op_sel_hi:[1,0,1] neg_lo:[0,0,1] neg_hi:[0,0,1]
	ds_write2_b32 v6, v17, v14 offset1:1
	v_pk_add_f16 v14, v13, v16 neg_lo:[0,1] neg_hi:[0,1]
	v_pk_add_f16 v15, v20, v15 neg_lo:[0,1] neg_hi:[0,1]
	v_pk_fma_f16 v13, v13, 2.0, v14 op_sel_hi:[1,0,1] neg_lo:[0,0,1] neg_hi:[0,0,1]
	v_add_u32_e32 v16, 0x1068, v8
	v_pk_fma_f16 v17, v20, 2.0, v15 op_sel_hi:[1,0,1] neg_lo:[0,0,1] neg_hi:[0,0,1]
	v_and_b32_e32 v31, 1, v5
	v_lshl_add_u32 v8, v9, 3, 0
	ds_write2_b32 v16, v17, v15 offset1:1
	ds_write2_b32 v8, v13, v14 offset1:1
	v_lshlrev_b32_e32 v13, 4, v31
	v_and_b32_e32 v32, 1, v7
	s_waitcnt lgkmcnt(0)
	s_barrier
	global_load_dwordx4 v[17:20], v13, s[12:13]
	v_lshlrev_b32_e32 v13, 4, v32
	global_load_dwordx4 v[21:24], v13, s[12:13]
	v_lshlrev_b32_e32 v28, 2, v9
	v_lshlrev_b32_e32 v27, 2, v10
	;; [unrolled: 1-line block ×3, first 2 shown]
	v_sub_u32_e32 v16, v8, v28
	v_sub_u32_e32 v15, v6, v27
	;; [unrolled: 1-line block ×3, first 2 shown]
	v_add_u32_e32 v34, 0xd00, v0
	v_add_u32_e32 v14, 0x1200, v0
	ds_read_b32 v35, v16
	ds_read_b32 v36, v33
	ds_read2_b32 v[25:26], v34 offset0:43 offset1:218
	ds_read_b32 v37, v15
	ds_read2_b32 v[29:30], v14 offset0:73 offset1:248
	ds_read_b32 v38, v0 offset:6300
	ds_read_b32 v39, v0 offset:2100
	ds_read_b32 v40, v0
	s_waitcnt lgkmcnt(7)
	v_lshrrev_b32_e32 v42, 16, v35
	s_waitcnt lgkmcnt(3)
	v_lshrrev_b32_e32 v44, 16, v30
	v_lshrrev_b32_e32 v41, 16, v37
	;; [unrolled: 1-line block ×3, first 2 shown]
	s_waitcnt lgkmcnt(1)
	v_lshrrev_b32_e32 v46, 16, v39
	v_lshrrev_b32_e32 v45, 16, v25
	s_mov_b32 s4, 0xbb9c
	s_movk_i32 s7, 0x3b9c
	s_mov_b32 s5, 0xb8b4
	s_movk_i32 s8, 0x38b4
	s_movk_i32 s6, 0x34f2
	s_waitcnt vmcnt(0) lgkmcnt(0)
	s_barrier
	s_movk_i32 s9, 0xcd
	v_mul_f16_sdwa v49, v18, v42 dst_sel:DWORD dst_unused:UNUSED_PAD src0_sel:WORD_1 src1_sel:DWORD
	v_mul_f16_sdwa v50, v18, v35 dst_sel:DWORD dst_unused:UNUSED_PAD src0_sel:WORD_1 src1_sel:DWORD
	;; [unrolled: 1-line block ×9, first 2 shown]
	v_fma_f16 v35, v18, v35, v49
	v_fma_f16 v18, v18, v42, -v50
	v_fma_f16 v42, v20, v44, -v53
	v_fma_f16 v20, v20, v30, v54
	v_lshrrev_b32_e32 v30, 16, v29
	v_fma_f16 v37, v17, v37, v47
	v_mul_f16_sdwa v47, v21, v39 dst_sel:DWORD dst_unused:UNUSED_PAD src0_sel:WORD_1 src1_sel:DWORD
	v_fma_f16 v17, v17, v41, -v48
	v_fma_f16 v41, v19, v43, -v51
	v_fma_f16 v19, v19, v26, v52
	v_fma_f16 v26, v21, v39, v57
	v_mul_f16_sdwa v39, v30, v23 dst_sel:DWORD dst_unused:UNUSED_PAD src0_sel:DWORD src1_sel:WORD_1
	v_fma_f16 v39, v29, v23, v39
	v_mul_f16_sdwa v29, v29, v23 dst_sel:DWORD dst_unused:UNUSED_PAD src0_sel:DWORD src1_sel:WORD_1
	v_fma_f16 v23, v30, v23, -v29
	v_lshrrev_b32_e32 v29, 16, v38
	v_mul_f16_sdwa v30, v29, v24 dst_sel:DWORD dst_unused:UNUSED_PAD src0_sel:DWORD src1_sel:WORD_1
	v_fma_f16 v30, v38, v24, v30
	v_mul_f16_sdwa v38, v38, v24 dst_sel:DWORD dst_unused:UNUSED_PAD src0_sel:DWORD src1_sel:WORD_1
	v_fma_f16 v24, v29, v24, -v38
	v_sub_f16_e32 v29, v37, v35
	v_sub_f16_e32 v38, v20, v19
	v_add_f16_e32 v29, v29, v38
	v_sub_f16_e32 v38, v17, v18
	v_sub_f16_e32 v43, v42, v41
	v_add_f16_e32 v38, v38, v43
	v_lshrrev_b32_e32 v43, 1, v5
	v_mul_f16_sdwa v55, v45, v22 dst_sel:DWORD dst_unused:UNUSED_PAD src0_sel:DWORD src1_sel:WORD_1
	v_mul_f16_sdwa v56, v25, v22 dst_sel:DWORD dst_unused:UNUSED_PAD src0_sel:DWORD src1_sel:WORD_1
	v_mul_u32_u24_e32 v43, 10, v43
	v_lshrrev_b32_e32 v44, 16, v40
	v_fma_f16 v25, v25, v22, v55
	v_fma_f16 v22, v45, v22, -v56
	v_or_b32_e32 v31, v43, v31
	v_add_f16_e32 v43, v40, v37
	v_add_f16_e32 v45, v44, v17
	;; [unrolled: 1-line block ×8, first 2 shown]
	v_pack_b32_f16 v43, v43, v45
	v_add_f16_e32 v45, v35, v19
	v_add_f16_e32 v49, v18, v41
	v_fma_f16 v21, v21, v46, -v47
	v_fma_f16 v45, v45, -0.5, v40
	v_sub_f16_e32 v46, v17, v42
	v_fma_f16 v49, v49, -0.5, v44
	v_sub_f16_e32 v50, v37, v20
	v_fma_f16 v47, v46, s4, v45
	v_sub_f16_e32 v48, v18, v41
	v_fma_f16 v51, v50, s7, v49
	v_sub_f16_e32 v52, v35, v19
	v_fma_f16 v47, v48, s5, v47
	v_fma_f16 v51, v52, s8, v51
	v_fma_f16 v47, v29, s6, v47
	v_fma_f16 v51, v38, s6, v51
	v_pack_b32_f16 v47, v47, v51
	v_lshl_add_u32 v31, v31, 2, 0
	ds_write2_b32 v31, v43, v47 offset1:2
	v_add_f16_e32 v43, v37, v20
	v_fma_f16 v40, v43, -0.5, v40
	v_sub_f16_e32 v35, v35, v37
	v_sub_f16_e32 v19, v19, v20
	v_add_f16_e32 v19, v35, v19
	v_fma_f16 v20, v48, s7, v40
	v_fma_f16 v35, v48, s4, v40
	;; [unrolled: 1-line block ×6, first 2 shown]
	v_add_f16_e32 v35, v17, v42
	v_fma_f16 v35, v35, -0.5, v44
	v_sub_f16_e32 v17, v18, v17
	v_sub_f16_e32 v18, v41, v42
	v_add_f16_e32 v17, v17, v18
	v_fma_f16 v18, v52, s4, v35
	v_fma_f16 v35, v52, s7, v35
	;; [unrolled: 1-line block ×6, first 2 shown]
	v_pack_b32_f16 v18, v20, v18
	v_pack_b32_f16 v17, v19, v17
	ds_write2_b32 v31, v18, v17 offset0:4 offset1:6
	v_fma_f16 v17, v46, s7, v45
	v_fma_f16 v18, v50, s4, v49
	;; [unrolled: 1-line block ×6, first 2 shown]
	v_pack_b32_f16 v17, v17, v18
	ds_write_b32 v31, v17 offset:32
	v_sub_f16_e32 v17, v26, v25
	v_sub_f16_e32 v18, v30, v39
	;; [unrolled: 1-line block ×4, first 2 shown]
	v_lshrrev_b32_e32 v29, 16, v36
	v_add_f16_e32 v17, v17, v18
	v_lshrrev_b32_e32 v18, 1, v7
	v_add_f16_e32 v19, v19, v20
	v_add_f16_e32 v20, v36, v26
	;; [unrolled: 1-line block ×3, first 2 shown]
	v_mul_lo_u32 v18, v18, 10
	v_add_f16_e32 v20, v20, v25
	v_add_f16_e32 v31, v31, v22
	;; [unrolled: 1-line block ×6, first 2 shown]
	v_pack_b32_f16 v20, v20, v31
	v_add_f16_e32 v31, v25, v39
	v_add_f16_e32 v38, v22, v23
	v_or_b32_e32 v18, v18, v32
	v_fma_f16 v31, v31, -0.5, v36
	v_sub_f16_e32 v32, v21, v24
	v_fma_f16 v38, v38, -0.5, v29
	v_sub_f16_e32 v40, v26, v30
	v_fma_f16 v35, v32, s4, v31
	v_sub_f16_e32 v37, v22, v23
	v_fma_f16 v41, v40, s7, v38
	v_sub_f16_e32 v42, v25, v39
	v_fma_f16 v35, v37, s5, v35
	v_fma_f16 v41, v42, s8, v41
	v_fma_f16 v35, v17, s6, v35
	;; [unrolled: 1-line block ×3, first 2 shown]
	v_pack_b32_f16 v35, v35, v41
	v_lshl_add_u32 v18, v18, 2, 0
	ds_write2_b32 v18, v20, v35 offset1:2
	v_add_f16_e32 v20, v26, v30
	v_fma_f16 v20, v20, -0.5, v36
	v_sub_f16_e32 v25, v25, v26
	v_sub_f16_e32 v26, v39, v30
	v_add_f16_e32 v25, v25, v26
	v_fma_f16 v26, v37, s7, v20
	v_fma_f16 v20, v37, s4, v20
	v_fma_f16 v26, v32, s5, v26
	v_fma_f16 v20, v32, s8, v20
	v_fma_f16 v26, v25, s6, v26
	v_fma_f16 v20, v25, s6, v20
	v_add_f16_e32 v25, v21, v24
	v_fma_f16 v25, v25, -0.5, v29
	v_sub_f16_e32 v21, v22, v21
	v_sub_f16_e32 v22, v23, v24
	v_add_f16_e32 v21, v21, v22
	v_fma_f16 v22, v42, s4, v25
	v_fma_f16 v23, v42, s7, v25
	;; [unrolled: 1-line block ×6, first 2 shown]
	v_pack_b32_f16 v22, v26, v22
	v_pack_b32_f16 v20, v20, v21
	ds_write2_b32 v18, v22, v20 offset0:4 offset1:6
	v_fma_f16 v20, v32, s7, v31
	v_fma_f16 v20, v37, s8, v20
	v_fma_f16 v17, v17, s6, v20
	v_fma_f16 v20, v40, s4, v38
	v_fma_f16 v20, v42, s5, v20
	v_fma_f16 v19, v19, s6, v20
	v_pack_b32_f16 v17, v17, v19
	ds_write_b32 v18, v17 offset:32
	v_mul_lo_u16_sdwa v17, v5, s9 dst_sel:DWORD dst_unused:UNUSED_PAD src0_sel:BYTE_0 src1_sel:DWORD
	v_lshrrev_b16_e32 v25, 11, v17
	v_mul_lo_u16_e32 v17, 10, v25
	v_sub_u16_e32 v26, v5, v17
	v_mov_b32_e32 v17, 4
	v_lshlrev_b32_sdwa v17, v17, v26 dst_sel:DWORD dst_unused:UNUSED_PAD src0_sel:DWORD src1_sel:BYTE_0
	s_waitcnt lgkmcnt(0)
	s_barrier
	global_load_dwordx4 v[17:20], v17, s[12:13] offset:32
	s_mov_b32 s9, 0xcccd
	v_mul_u32_u24_sdwa v21, v7, s9 dst_sel:DWORD dst_unused:UNUSED_PAD src0_sel:WORD_0 src1_sel:DWORD
	v_lshrrev_b32_e32 v29, 19, v21
	v_mul_lo_u16_e32 v21, 10, v29
	v_sub_u16_e32 v30, v7, v21
	v_lshlrev_b32_e32 v21, 4, v30
	global_load_dwordx4 v[21:24], v21, s[12:13] offset:32
	ds_read_b32 v32, v33
	ds_read_b32 v15, v15
	;; [unrolled: 1-line block ×3, first 2 shown]
	ds_read_b32 v33, v0 offset:6300
	ds_read_b32 v38, v0 offset:2100
	v_mul_u32_u24_e32 v25, 0xc8, v25
	s_waitcnt lgkmcnt(3)
	v_lshrrev_b32_e32 v16, 16, v15
	s_waitcnt vmcnt(1)
	v_mul_f16_sdwa v35, v17, v16 dst_sel:DWORD dst_unused:UNUSED_PAD src0_sel:WORD_1 src1_sel:DWORD
	v_fma_f16 v35, v17, v15, v35
	v_mul_f16_sdwa v15, v17, v15 dst_sel:DWORD dst_unused:UNUSED_PAD src0_sel:WORD_1 src1_sel:DWORD
	v_fma_f16 v36, v17, v16, -v15
	s_waitcnt lgkmcnt(2)
	v_lshrrev_b32_e32 v17, 16, v31
	ds_read2_b32 v[15:16], v34 offset0:43 offset1:218
	v_mul_f16_sdwa v34, v18, v17 dst_sel:DWORD dst_unused:UNUSED_PAD src0_sel:WORD_1 src1_sel:DWORD
	v_fma_f16 v34, v18, v31, v34
	v_mul_f16_sdwa v31, v18, v31 dst_sel:DWORD dst_unused:UNUSED_PAD src0_sel:WORD_1 src1_sel:DWORD
	v_fma_f16 v37, v18, v17, -v31
	ds_read2_b32 v[17:18], v14 offset0:73 offset1:248
	s_waitcnt lgkmcnt(1)
	v_lshrrev_b32_e32 v31, 16, v16
	v_mul_f16_sdwa v14, v19, v16 dst_sel:DWORD dst_unused:UNUSED_PAD src0_sel:WORD_1 src1_sel:DWORD
	v_fma_f16 v14, v19, v31, -v14
	v_mul_f16_sdwa v31, v19, v31 dst_sel:DWORD dst_unused:UNUSED_PAD src0_sel:WORD_1 src1_sel:DWORD
	v_fma_f16 v16, v19, v16, v31
	s_waitcnt lgkmcnt(0)
	v_lshrrev_b32_e32 v19, 16, v18
	v_mul_f16_sdwa v31, v20, v18 dst_sel:DWORD dst_unused:UNUSED_PAD src0_sel:WORD_1 src1_sel:DWORD
	v_fma_f16 v39, v20, v19, -v31
	v_mul_f16_sdwa v19, v20, v19 dst_sel:DWORD dst_unused:UNUSED_PAD src0_sel:WORD_1 src1_sel:DWORD
	v_fma_f16 v18, v20, v18, v19
	ds_read_b32 v19, v0
	v_lshrrev_b32_e32 v20, 16, v38
	s_waitcnt vmcnt(0)
	v_mul_f16_sdwa v31, v21, v20 dst_sel:DWORD dst_unused:UNUSED_PAD src0_sel:WORD_1 src1_sel:DWORD
	v_fma_f16 v40, v21, v38, v31
	v_mul_f16_sdwa v31, v21, v38 dst_sel:DWORD dst_unused:UNUSED_PAD src0_sel:WORD_1 src1_sel:DWORD
	v_fma_f16 v20, v21, v20, -v31
	v_lshrrev_b32_e32 v21, 16, v15
	v_mul_f16_sdwa v31, v21, v22 dst_sel:DWORD dst_unused:UNUSED_PAD src0_sel:DWORD src1_sel:WORD_1
	v_fma_f16 v38, v15, v22, v31
	v_mul_f16_sdwa v15, v15, v22 dst_sel:DWORD dst_unused:UNUSED_PAD src0_sel:DWORD src1_sel:WORD_1
	v_fma_f16 v21, v21, v22, -v15
	v_lshrrev_b32_e32 v15, 16, v17
	v_mul_f16_sdwa v22, v15, v23 dst_sel:DWORD dst_unused:UNUSED_PAD src0_sel:DWORD src1_sel:WORD_1
	v_fma_f16 v22, v17, v23, v22
	v_mul_f16_sdwa v17, v17, v23 dst_sel:DWORD dst_unused:UNUSED_PAD src0_sel:DWORD src1_sel:WORD_1
	v_fma_f16 v17, v15, v23, -v17
	v_lshrrev_b32_e32 v15, 16, v33
	v_mul_f16_sdwa v23, v15, v24 dst_sel:DWORD dst_unused:UNUSED_PAD src0_sel:DWORD src1_sel:WORD_1
	v_mul_f16_sdwa v31, v33, v24 dst_sel:DWORD dst_unused:UNUSED_PAD src0_sel:DWORD src1_sel:WORD_1
	v_fma_f16 v23, v33, v24, v23
	v_fma_f16 v24, v15, v24, -v31
	v_sub_f16_e32 v15, v35, v34
	v_sub_f16_e32 v31, v18, v16
	v_add_f16_e32 v15, v15, v31
	v_sub_f16_e32 v31, v36, v37
	v_sub_f16_e32 v33, v39, v14
	v_add_f16_e32 v33, v31, v33
	v_mov_b32_e32 v31, 2
	v_lshlrev_b32_sdwa v26, v31, v26 dst_sel:DWORD dst_unused:UNUSED_PAD src0_sel:DWORD src1_sel:BYTE_0
	s_waitcnt lgkmcnt(0)
	v_lshrrev_b32_e32 v41, 16, v19
	v_add3_u32 v25, 0, v25, v26
	v_add_f16_e32 v26, v19, v35
	v_add_f16_e32 v42, v41, v36
	;; [unrolled: 1-line block ×8, first 2 shown]
	v_pack_b32_f16 v26, v26, v42
	v_add_f16_e32 v42, v34, v16
	v_add_f16_e32 v46, v37, v14
	v_fma_f16 v42, v42, -0.5, v19
	v_sub_f16_e32 v43, v36, v39
	v_fma_f16 v46, v46, -0.5, v41
	v_sub_f16_e32 v47, v35, v18
	v_fma_f16 v44, v43, s4, v42
	v_sub_f16_e32 v45, v37, v14
	v_fma_f16 v48, v47, s7, v46
	;; [unrolled: 2-line block ×3, first 2 shown]
	v_fma_f16 v48, v49, s8, v48
	v_fma_f16 v44, v15, s6, v44
	;; [unrolled: 1-line block ×3, first 2 shown]
	v_pack_b32_f16 v44, v44, v48
	s_barrier
	ds_write2_b32 v25, v26, v44 offset1:10
	v_add_f16_e32 v26, v35, v18
	v_fma_f16 v19, v26, -0.5, v19
	v_sub_f16_e32 v26, v34, v35
	v_sub_f16_e32 v16, v16, v18
	v_fma_f16 v18, v45, s7, v19
	v_fma_f16 v19, v45, s4, v19
	v_add_f16_e32 v16, v26, v16
	v_fma_f16 v18, v43, s5, v18
	v_fma_f16 v19, v43, s8, v19
	;; [unrolled: 1-line block ×4, first 2 shown]
	v_add_f16_e32 v19, v36, v39
	v_fma_f16 v19, v19, -0.5, v41
	v_sub_f16_e32 v26, v37, v36
	v_sub_f16_e32 v14, v14, v39
	v_add_f16_e32 v14, v26, v14
	v_fma_f16 v26, v49, s4, v19
	v_fma_f16 v19, v49, s7, v19
	;; [unrolled: 1-line block ×6, first 2 shown]
	v_pack_b32_f16 v18, v18, v26
	v_pack_b32_f16 v14, v16, v14
	ds_write2_b32 v25, v18, v14 offset0:20 offset1:30
	v_fma_f16 v14, v43, s7, v42
	v_fma_f16 v14, v45, s8, v14
	;; [unrolled: 1-line block ×6, first 2 shown]
	v_pack_b32_f16 v14, v14, v15
	ds_write_b32 v25, v14 offset:160
	v_sub_f16_e32 v14, v40, v38
	v_sub_f16_e32 v15, v23, v22
	v_add_f16_e32 v14, v14, v15
	v_sub_f16_e32 v15, v20, v21
	v_sub_f16_e32 v16, v24, v17
	v_add_f16_e32 v16, v15, v16
	v_lshlrev_b32_e32 v15, 2, v30
	v_mul_u32_u24_e32 v18, 0xc8, v29
	v_lshrrev_b32_e32 v19, 16, v32
	v_add3_u32 v18, 0, v18, v15
	v_add_f16_e32 v15, v32, v40
	v_add_f16_e32 v25, v19, v20
	;; [unrolled: 1-line block ×8, first 2 shown]
	v_pack_b32_f16 v15, v15, v25
	v_add_f16_e32 v25, v38, v22
	v_add_f16_e32 v33, v21, v17
	v_fma_f16 v25, v25, -0.5, v32
	v_sub_f16_e32 v26, v20, v24
	v_fma_f16 v34, v33, -0.5, v19
	v_sub_f16_e32 v35, v40, v23
	v_fma_f16 v29, v26, s4, v25
	v_sub_f16_e32 v30, v21, v17
	v_fma_f16 v33, v35, s7, v34
	;; [unrolled: 2-line block ×3, first 2 shown]
	v_fma_f16 v33, v36, s8, v33
	v_fma_f16 v29, v14, s6, v29
	;; [unrolled: 1-line block ×3, first 2 shown]
	v_pack_b32_f16 v29, v29, v33
	ds_write2_b32 v18, v15, v29 offset1:10
	v_add_f16_e32 v15, v40, v23
	v_fma_f16 v15, v15, -0.5, v32
	v_sub_f16_e32 v29, v38, v40
	v_sub_f16_e32 v22, v22, v23
	v_fma_f16 v23, v26, s7, v25
	v_fma_f16 v25, v30, s7, v15
	;; [unrolled: 1-line block ×3, first 2 shown]
	v_add_f16_e32 v22, v29, v22
	v_fma_f16 v23, v30, s8, v23
	v_fma_f16 v25, v26, s5, v25
	;; [unrolled: 1-line block ×6, first 2 shown]
	v_add_f16_e32 v22, v20, v24
	v_fma_f16 v19, v22, -0.5, v19
	v_sub_f16_e32 v20, v21, v20
	v_sub_f16_e32 v17, v17, v24
	v_add_f16_e32 v17, v20, v17
	v_fma_f16 v20, v36, s4, v19
	v_fma_f16 v19, v36, s7, v19
	;; [unrolled: 1-line block ×6, first 2 shown]
	v_pack_b32_f16 v17, v29, v30
	v_pack_b32_f16 v19, v14, v33
	ds_write2_b32 v18, v17, v19 offset0:20 offset1:30
	v_fma_f16 v17, v35, s4, v34
	v_fma_f16 v17, v36, s5, v17
	;; [unrolled: 1-line block ×3, first 2 shown]
	v_pack_b32_f16 v16, v15, v32
	ds_write_b32 v18, v16 offset:160
	v_add_u32_e32 v16, 0x7c0, v0
	s_waitcnt lgkmcnt(0)
	s_barrier
	ds_read2_b32 v[24:25], v16 offset0:4 offset1:254
	v_add_u32_e32 v16, 0xfa0, v0
	ds_read2_b32 v[22:23], v16 offset1:250
	ds_read_b32 v38, v0 offset:6000
	ds_read2_b32 v[20:21], v0 offset1:250
	v_sub_u32_e32 v16, 0, v13
	s_movk_i32 s4, 0x4b
	v_add_u32_e32 v26, v12, v16
	v_cmp_gt_u32_e32 vcc, s4, v5
                                        ; implicit-def: $vgpr34
                                        ; implicit-def: $vgpr37
                                        ; implicit-def: $vgpr35
                                        ; implicit-def: $vgpr36
                                        ; implicit-def: $vgpr17
                                        ; implicit-def: $vgpr19
	s_and_saveexec_b64 s[4:5], vcc
	s_cbranch_execz .LBB0_15
; %bb.14:
	v_add_u32_e32 v12, 0xe60, v0
	ds_read_b32 v29, v26
	ds_read_u16 v32, v0 offset:2702
	v_add_u32_e32 v14, 0x1640, v0
	ds_read2_b32 v[16:17], v12 offset0:5 offset1:255
	v_add_u32_e32 v12, 0x6a0, v0
	ds_read2_b32 v[18:19], v14 offset0:1 offset1:251
	ds_read2_b32 v[14:15], v12 offset0:1 offset1:251
	s_waitcnt lgkmcnt(4)
	v_lshrrev_b32_e32 v30, 16, v29
	s_waitcnt lgkmcnt(2)
	v_lshrrev_b32_e32 v36, 16, v16
	v_lshrrev_b32_e32 v34, 16, v17
	s_waitcnt lgkmcnt(1)
	v_lshrrev_b32_e32 v35, 16, v18
	;; [unrolled: 3-line block ×3, first 2 shown]
.LBB0_15:
	s_or_b64 exec, exec, s[4:5]
	v_mov_b32_e32 v12, 41
	v_mul_lo_u16_sdwa v39, v5, v12 dst_sel:DWORD dst_unused:UNUSED_PAD src0_sel:BYTE_0 src1_sel:DWORD
	v_lshrrev_b16_e32 v49, 11, v39
	v_mul_lo_u16_e32 v39, 50, v49
	v_sub_u16_e32 v50, v5, v39
	v_mov_b32_e32 v39, 6
	v_mul_u32_u24_sdwa v39, v50, v39 dst_sel:DWORD dst_unused:UNUSED_PAD src0_sel:BYTE_0 src1_sel:DWORD
	v_lshlrev_b32_e32 v51, 2, v39
	global_load_dwordx4 v[39:42], v51, s[12:13] offset:192
	s_waitcnt lgkmcnt(0)
	v_lshrrev_b32_e32 v43, 16, v21
	v_lshrrev_b32_e32 v44, 16, v24
	;; [unrolled: 1-line block ×6, first 2 shown]
	s_movk_i32 s8, 0x2b26
	s_mov_b32 s6, 0xbb00
	s_mov_b32 s9, 0xbcab
	s_movk_i32 s7, 0x39e0
	s_mov_b32 s15, 0xb9e0
	s_mov_b32 s16, 0xb574
	s_movk_i32 s17, 0x3574
	s_mov_b32 s14, 0xb70e
	v_lshlrev_b32_sdwa v31, v31, v50 dst_sel:DWORD dst_unused:UNUSED_PAD src0_sel:DWORD src1_sel:BYTE_0
	v_sub_u32_e32 v27, 0, v27
	v_sub_u32_e32 v28, 0, v28
	s_waitcnt vmcnt(0)
	v_mul_f16_sdwa v52, v39, v43 dst_sel:DWORD dst_unused:UNUSED_PAD src0_sel:WORD_1 src1_sel:DWORD
	v_fma_f16 v52, v39, v21, v52
	v_mul_f16_sdwa v21, v39, v21 dst_sel:DWORD dst_unused:UNUSED_PAD src0_sel:WORD_1 src1_sel:DWORD
	v_fma_f16 v39, v39, v43, -v21
	v_mul_f16_sdwa v21, v40, v44 dst_sel:DWORD dst_unused:UNUSED_PAD src0_sel:WORD_1 src1_sel:DWORD
	v_fma_f16 v43, v40, v24, v21
	v_mul_f16_sdwa v21, v40, v24 dst_sel:DWORD dst_unused:UNUSED_PAD src0_sel:WORD_1 src1_sel:DWORD
	v_fma_f16 v24, v40, v44, -v21
	;; [unrolled: 4-line block ×4, first 2 shown]
	global_load_dwordx2 v[21:22], v51, s[12:13] offset:208
	s_waitcnt vmcnt(0)
	s_barrier
	v_mul_f16_sdwa v44, v21, v47 dst_sel:DWORD dst_unused:UNUSED_PAD src0_sel:WORD_1 src1_sel:DWORD
	v_fma_f16 v44, v21, v23, v44
	v_mul_f16_sdwa v23, v21, v23 dst_sel:DWORD dst_unused:UNUSED_PAD src0_sel:WORD_1 src1_sel:DWORD
	v_fma_f16 v21, v21, v47, -v23
	v_mul_f16_sdwa v23, v22, v48 dst_sel:DWORD dst_unused:UNUSED_PAD src0_sel:WORD_1 src1_sel:DWORD
	v_fma_f16 v23, v22, v38, v23
	v_mul_f16_sdwa v38, v22, v38 dst_sel:DWORD dst_unused:UNUSED_PAD src0_sel:WORD_1 src1_sel:DWORD
	v_fma_f16 v22, v22, v48, -v38
	v_add_f16_e32 v38, v52, v23
	v_add_f16_e32 v45, v39, v22
	v_sub_f16_e32 v22, v39, v22
	v_add_f16_e32 v39, v43, v44
	v_add_f16_e32 v46, v24, v21
	v_sub_f16_e32 v43, v43, v44
	v_sub_f16_e32 v21, v24, v21
	v_add_f16_e32 v24, v40, v41
	v_add_f16_e32 v44, v25, v42
	v_sub_f16_e32 v40, v41, v40
	;; [unrolled: 4-line block ×3, first 2 shown]
	v_sub_f16_e32 v47, v39, v38
	v_sub_f16_e32 v48, v46, v45
	;; [unrolled: 1-line block ×6, first 2 shown]
	v_add_f16_e32 v51, v40, v43
	v_add_f16_e32 v52, v25, v21
	v_sub_f16_e32 v53, v40, v43
	v_sub_f16_e32 v54, v25, v21
	;; [unrolled: 1-line block ×3, first 2 shown]
	v_add_f16_e32 v24, v24, v41
	v_add_f16_e32 v41, v44, v42
	v_sub_f16_e32 v40, v23, v40
	v_sub_f16_e32 v25, v22, v25
	;; [unrolled: 1-line block ×3, first 2 shown]
	v_add_f16_e32 v23, v51, v23
	v_add_f16_e32 v22, v52, v22
	;; [unrolled: 1-line block ×3, first 2 shown]
	v_add_f16_sdwa v20, v41, v20 dst_sel:DWORD dst_unused:UNUSED_PAD src0_sel:DWORD src1_sel:WORD_1
	v_mul_f16_e32 v38, 0x3a52, v38
	v_mul_f16_e32 v44, 0x3a52, v45
	;; [unrolled: 1-line block ×8, first 2 shown]
	v_fma_f16 v24, v24, s9, v42
	v_fma_f16 v41, v41, s9, v20
	;; [unrolled: 1-line block ×4, first 2 shown]
	v_fma_f16 v45, v47, s7, -v45
	v_fma_f16 v51, v48, s7, -v51
	;; [unrolled: 1-line block ×4, first 2 shown]
	v_fma_f16 v47, v40, s16, v52
	v_fma_f16 v48, v25, s16, v53
	v_fma_f16 v21, v21, s6, -v53
	v_fma_f16 v25, v25, s17, -v55
	;; [unrolled: 1-line block ×4, first 2 shown]
	v_add_f16_e32 v39, v39, v24
	v_add_f16_e32 v46, v46, v41
	;; [unrolled: 1-line block ×6, first 2 shown]
	v_fma_f16 v41, v23, s14, v47
	v_fma_f16 v44, v22, s14, v48
	;; [unrolled: 1-line block ×6, first 2 shown]
	v_add_f16_e32 v25, v44, v39
	v_sub_f16_e32 v40, v46, v41
	v_add_f16_e32 v47, v22, v24
	v_sub_f16_e32 v22, v24, v22
	v_sub_f16_e32 v24, v39, v44
	v_mul_u32_u24_e32 v39, 0x578, v49
	v_sub_f16_e32 v48, v38, v23
	v_sub_f16_e32 v52, v45, v21
	v_add_f16_e32 v53, v43, v51
	v_add3_u32 v31, 0, v39, v31
	v_pack_b32_f16 v20, v42, v20
	v_pack_b32_f16 v25, v25, v40
	v_add_f16_e32 v21, v21, v45
	v_sub_f16_e32 v43, v51, v43
	v_add_f16_e32 v23, v23, v38
	ds_write2_b32 v31, v20, v25 offset1:50
	v_pack_b32_f16 v20, v47, v48
	v_pack_b32_f16 v25, v52, v53
	v_add_f16_e32 v38, v41, v46
	ds_write2_b32 v31, v20, v25 offset0:100 offset1:150
	v_pack_b32_f16 v20, v21, v43
	v_pack_b32_f16 v21, v22, v23
	ds_write2_b32 v31, v20, v21 offset0:200 offset1:250
	v_pack_b32_f16 v20, v24, v38
	ds_write_b32 v31, v20 offset:1200
	s_and_saveexec_b64 s[4:5], vcc
	s_cbranch_execz .LBB0_17
; %bb.16:
	v_lshrrev_b16_e32 v20, 1, v7
	v_mul_u32_u24_e32 v20, 0x147b, v20
	v_lshrrev_b32_e32 v20, 17, v20
	v_mul_lo_u16_e32 v20, 50, v20
	v_sub_u16_e32 v31, v7, v20
	v_mul_u32_u24_e32 v20, 6, v31
	v_lshlrev_b32_e32 v38, 2, v20
	global_load_dwordx4 v[20:23], v38, s[12:13] offset:192
	global_load_dwordx2 v[24:25], v38, s[12:13] offset:208
	v_mul_lo_u16_sdwa v12, v7, v12 dst_sel:DWORD dst_unused:UNUSED_PAD src0_sel:BYTE_0 src1_sel:DWORD
	v_lshrrev_b16_e32 v12, 11, v12
	v_mul_u32_u24_e32 v12, 0x578, v12
	s_waitcnt vmcnt(1)
	v_mul_f16_sdwa v38, v33, v20 dst_sel:DWORD dst_unused:UNUSED_PAD src0_sel:DWORD src1_sel:WORD_1
	s_waitcnt vmcnt(0)
	v_mul_f16_sdwa v39, v37, v25 dst_sel:DWORD dst_unused:UNUSED_PAD src0_sel:DWORD src1_sel:WORD_1
	v_mul_f16_sdwa v42, v32, v21 dst_sel:DWORD dst_unused:UNUSED_PAD src0_sel:DWORD src1_sel:WORD_1
	;; [unrolled: 1-line block ×11, first 2 shown]
	v_fma_f16 v14, v14, v20, v38
	v_fma_f16 v19, v19, v25, v39
	;; [unrolled: 1-line block ×4, first 2 shown]
	v_fma_f16 v25, v37, v25, -v44
	v_fma_f16 v20, v33, v20, -v45
	;; [unrolled: 1-line block ×4, first 2 shown]
	v_fma_f16 v17, v17, v23, v40
	v_fma_f16 v16, v16, v22, v41
	v_fma_f16 v22, v36, v22, -v46
	v_fma_f16 v23, v34, v23, -v47
	v_sub_f16_e32 v32, v14, v19
	v_sub_f16_e32 v34, v15, v18
	v_add_f16_e32 v35, v20, v25
	v_add_f16_e32 v37, v21, v24
	;; [unrolled: 1-line block ×4, first 2 shown]
	v_sub_f16_e32 v33, v17, v16
	v_add_f16_e32 v36, v22, v23
	v_add_f16_e32 v16, v16, v17
	v_sub_f16_e32 v17, v20, v25
	v_sub_f16_e32 v18, v23, v22
	;; [unrolled: 1-line block ×3, first 2 shown]
	v_add_f16_e32 v25, v37, v35
	v_add_f16_e32 v39, v15, v14
	v_sub_f16_e32 v20, v32, v33
	v_sub_f16_e32 v21, v33, v34
	v_add_f16_e32 v22, v33, v34
	v_sub_f16_e32 v23, v35, v36
	v_sub_f16_e32 v24, v36, v37
	;; [unrolled: 1-line block ×6, first 2 shown]
	v_add_f16_e32 v18, v18, v19
	v_sub_f16_e32 v34, v34, v32
	v_sub_f16_e32 v14, v15, v14
	;; [unrolled: 1-line block ×3, first 2 shown]
	v_add_f16_e32 v25, v36, v25
	v_add_f16_e32 v16, v16, v39
	v_sub_f16_e32 v35, v37, v35
	v_mul_f16_e32 v19, 0x3846, v21
	v_add_f16_e32 v21, v22, v32
	v_mul_f16_e32 v22, 0x3a52, v23
	v_mul_f16_e32 v23, 0x2b26, v24
	;; [unrolled: 1-line block ×5, first 2 shown]
	v_add_f16_e32 v17, v18, v17
	v_mul_f16_e32 v18, 0xbb00, v34
	v_mul_f16_e32 v37, 0xbb00, v15
	v_add_f16_e32 v30, v30, v25
	v_add_f16_e32 v29, v29, v16
	v_fma_f16 v39, v20, s16, v19
	v_fma_f16 v24, v24, s8, v22
	;; [unrolled: 1-line block ×3, first 2 shown]
	v_fma_f16 v18, v20, s17, -v18
	v_fma_f16 v20, v35, s15, -v22
	v_fma_f16 v22, v14, s15, -v32
	v_fma_f16 v32, v40, s17, -v37
	v_fma_f16 v25, v25, s9, v30
	v_fma_f16 v16, v16, s9, v29
	v_fma_f16 v23, v35, s7, -v23
	v_fma_f16 v19, v34, s6, -v19
	;; [unrolled: 1-line block ×4, first 2 shown]
	v_fma_f16 v41, v40, s16, v36
	v_fma_f16 v18, v21, s14, v18
	;; [unrolled: 1-line block ×3, first 2 shown]
	v_add_f16_e32 v20, v20, v25
	v_add_f16_e32 v22, v22, v16
	v_add_f16_e32 v23, v23, v25
	v_fma_f16 v19, v21, s14, v19
	v_fma_f16 v15, v17, s14, v15
	v_add_f16_e32 v14, v14, v16
	v_fma_f16 v37, v21, s14, v39
	v_fma_f16 v39, v17, s14, v41
	v_add_f16_e32 v38, v38, v16
	v_add_f16_e32 v42, v18, v20
	v_sub_f16_e32 v43, v22, v32
	v_add_f16_e32 v16, v15, v14
	v_add_f16_e32 v17, v19, v23
	v_sub_f16_e32 v14, v14, v15
	v_sub_f16_e32 v15, v20, v18
	v_add_f16_e32 v18, v32, v22
	v_lshlrev_b32_e32 v22, 2, v31
	v_add_f16_e32 v24, v24, v25
	v_sub_f16_e32 v21, v23, v19
	v_add3_u32 v12, 0, v12, v22
	v_pack_b32_f16 v15, v18, v15
	v_pack_b32_f16 v14, v14, v17
	v_add_f16_e32 v40, v37, v24
	v_sub_f16_e32 v41, v38, v39
	v_sub_f16_e32 v19, v24, v37
	v_add_f16_e32 v20, v39, v38
	ds_write2_b32 v12, v15, v14 offset0:100 offset1:150
	v_pack_b32_f16 v14, v16, v21
	v_pack_b32_f16 v15, v43, v42
	;; [unrolled: 1-line block ×4, first 2 shown]
	ds_write2_b32 v12, v14, v15 offset0:200 offset1:250
	v_pack_b32_f16 v14, v41, v40
	ds_write2_b32 v12, v22, v19 offset1:50
	ds_write_b32 v12, v14 offset:1200
.LBB0_17:
	s_or_b64 exec, exec, s[4:5]
	v_mov_b32_e32 v12, 0
	v_lshlrev_b64 v[14:15], 2, v[11:12]
	v_mov_b32_e32 v16, s13
	v_add_co_u32_e32 v14, vcc, s12, v14
	v_addc_co_u32_e32 v15, vcc, v16, v15, vcc
	s_waitcnt lgkmcnt(0)
	s_barrier
	global_load_dwordx4 v[17:20], v[14:15], off offset:1392
	v_mov_b32_e32 v14, v12
	v_lshlrev_b64 v[13:14], 2, v[13:14]
	v_add_u32_e32 v15, v8, v28
	v_add_co_u32_e32 v13, vcc, s12, v13
	v_addc_co_u32_e32 v14, vcc, v16, v14, vcc
	global_load_dwordx4 v[21:24], v[13:14], off offset:1392
	v_add_u32_e32 v16, v6, v27
	v_add_u32_e32 v6, 0xd00, v0
	;; [unrolled: 1-line block ×3, first 2 shown]
	ds_read_b32 v25, v26
	ds_read_b32 v29, v0
	ds_read_b32 v30, v0 offset:2100
	ds_read_b32 v31, v15
	ds_read2_b32 v[13:14], v6 offset0:43 offset1:218
	ds_read2_b32 v[27:28], v8 offset0:73 offset1:248
	ds_read_b32 v6, v16
	ds_read_b32 v8, v0 offset:6300
	s_waitcnt lgkmcnt(4)
	v_lshrrev_b32_e32 v39, 16, v31
	s_waitcnt lgkmcnt(3)
	v_lshrrev_b32_e32 v40, 16, v14
	;; [unrolled: 2-line block ×3, first 2 shown]
	v_lshrrev_b32_e32 v35, 16, v13
	s_waitcnt lgkmcnt(1)
	v_lshrrev_b32_e32 v38, 16, v6
	v_lshrrev_b32_e32 v34, 16, v30
	;; [unrolled: 1-line block ×3, first 2 shown]
	s_waitcnt lgkmcnt(0)
	v_lshrrev_b32_e32 v37, 16, v8
	s_mov_b32 s4, 0xbb9c
	s_movk_i32 s7, 0x3b9c
	s_mov_b32 s5, 0xb8b4
	s_movk_i32 s8, 0x38b4
	s_movk_i32 s6, 0x34f2
	v_lshrrev_b32_e32 v32, 16, v29
	v_lshrrev_b32_e32 v33, 16, v25
	s_waitcnt vmcnt(0)
	s_barrier
	v_cmp_ne_u32_e32 vcc, 0, v5
	v_mul_f16_sdwa v44, v18, v39 dst_sel:DWORD dst_unused:UNUSED_PAD src0_sel:WORD_1 src1_sel:DWORD
	v_mul_f16_sdwa v46, v19, v40 dst_sel:DWORD dst_unused:UNUSED_PAD src0_sel:WORD_1 src1_sel:DWORD
	v_mul_f16_sdwa v47, v19, v14 dst_sel:DWORD dst_unused:UNUSED_PAD src0_sel:WORD_1 src1_sel:DWORD
	v_mul_f16_sdwa v48, v20, v41 dst_sel:DWORD dst_unused:UNUSED_PAD src0_sel:WORD_1 src1_sel:DWORD
	v_mul_f16_sdwa v49, v20, v28 dst_sel:DWORD dst_unused:UNUSED_PAD src0_sel:WORD_1 src1_sel:DWORD
	v_mul_f16_sdwa v42, v17, v38 dst_sel:DWORD dst_unused:UNUSED_PAD src0_sel:WORD_1 src1_sel:DWORD
	v_mul_f16_sdwa v43, v17, v6 dst_sel:DWORD dst_unused:UNUSED_PAD src0_sel:WORD_1 src1_sel:DWORD
	v_mul_f16_sdwa v45, v18, v31 dst_sel:DWORD dst_unused:UNUSED_PAD src0_sel:WORD_1 src1_sel:DWORD
	v_fma_f16 v31, v18, v31, v44
	v_fma_f16 v14, v19, v14, v46
	v_fma_f16 v19, v19, v40, -v47
	v_fma_f16 v28, v20, v28, v48
	v_fma_f16 v20, v20, v41, -v49
	v_mul_f16_sdwa v40, v35, v22 dst_sel:DWORD dst_unused:UNUSED_PAD src0_sel:DWORD src1_sel:WORD_1
	v_mul_f16_sdwa v41, v13, v22 dst_sel:DWORD dst_unused:UNUSED_PAD src0_sel:DWORD src1_sel:WORD_1
	v_fma_f16 v6, v17, v6, v42
	v_fma_f16 v17, v17, v38, -v43
	v_fma_f16 v18, v18, v39, -v45
	v_mul_f16_sdwa v38, v21, v34 dst_sel:DWORD dst_unused:UNUSED_PAD src0_sel:WORD_1 src1_sel:DWORD
	v_mul_f16_sdwa v39, v21, v30 dst_sel:DWORD dst_unused:UNUSED_PAD src0_sel:WORD_1 src1_sel:DWORD
	v_mul_f16_sdwa v42, v36, v23 dst_sel:DWORD dst_unused:UNUSED_PAD src0_sel:DWORD src1_sel:WORD_1
	v_mul_f16_sdwa v43, v27, v23 dst_sel:DWORD dst_unused:UNUSED_PAD src0_sel:DWORD src1_sel:WORD_1
	v_fma_f16 v13, v13, v22, v40
	v_fma_f16 v22, v35, v22, -v41
	v_add_f16_e32 v35, v31, v14
	v_mul_f16_sdwa v44, v37, v24 dst_sel:DWORD dst_unused:UNUSED_PAD src0_sel:DWORD src1_sel:WORD_1
	v_mul_f16_sdwa v45, v8, v24 dst_sel:DWORD dst_unused:UNUSED_PAD src0_sel:DWORD src1_sel:WORD_1
	v_fma_f16 v30, v21, v30, v38
	v_fma_f16 v21, v21, v34, -v39
	v_fma_f16 v27, v27, v23, v42
	v_fma_f16 v23, v36, v23, -v43
	v_sub_f16_e32 v36, v17, v20
	v_sub_f16_e32 v38, v6, v31
	;; [unrolled: 1-line block ×3, first 2 shown]
	v_fma_f16 v35, v35, -0.5, v29
	v_fma_f16 v8, v8, v24, v44
	v_fma_f16 v24, v37, v24, -v45
	v_sub_f16_e32 v37, v18, v19
	v_add_f16_e32 v38, v38, v39
	v_fma_f16 v39, v36, s4, v35
	v_fma_f16 v35, v36, s7, v35
	;; [unrolled: 1-line block ×6, first 2 shown]
	v_add_f16_e32 v38, v6, v28
	v_add_f16_e32 v34, v29, v6
	v_fma_f16 v29, v38, -0.5, v29
	v_add_f16_e32 v34, v34, v31
	v_fma_f16 v38, v37, s7, v29
	v_sub_f16_e32 v40, v31, v6
	v_sub_f16_e32 v41, v14, v28
	v_fma_f16 v29, v37, s4, v29
	v_add_f16_e32 v37, v18, v19
	v_add_f16_e32 v34, v34, v14
	v_fma_f16 v38, v36, s5, v38
	v_add_f16_e32 v40, v40, v41
	v_fma_f16 v29, v36, s8, v29
	v_fma_f16 v37, v37, -0.5, v32
	v_sub_f16_e32 v6, v6, v28
	v_add_f16_e32 v34, v34, v28
	v_fma_f16 v38, v40, s6, v38
	v_fma_f16 v29, v40, s6, v29
	v_fma_f16 v28, v6, s7, v37
	v_sub_f16_e32 v14, v31, v14
	v_sub_f16_e32 v31, v17, v18
	;; [unrolled: 1-line block ×3, first 2 shown]
	v_fma_f16 v37, v6, s4, v37
	v_fma_f16 v28, v14, s8, v28
	v_add_f16_e32 v31, v31, v40
	v_fma_f16 v37, v14, s5, v37
	v_fma_f16 v28, v31, s6, v28
	;; [unrolled: 1-line block ×3, first 2 shown]
	v_add_f16_e32 v37, v17, v20
	v_add_f16_e32 v36, v32, v17
	v_fma_f16 v32, v37, -0.5, v32
	v_add_f16_e32 v36, v36, v18
	v_fma_f16 v37, v14, s4, v32
	v_sub_f16_e32 v17, v18, v17
	v_sub_f16_e32 v18, v19, v20
	v_fma_f16 v14, v14, s7, v32
	v_fma_f16 v37, v6, s8, v37
	v_add_f16_e32 v17, v17, v18
	v_fma_f16 v6, v6, s5, v14
	v_fma_f16 v18, v17, s6, v37
	;; [unrolled: 1-line block ×3, first 2 shown]
	v_add_f16_e32 v17, v13, v27
	v_add_f16_e32 v36, v36, v19
	v_fma_f16 v17, v17, -0.5, v25
	v_sub_f16_e32 v19, v21, v24
	v_add_f16_e32 v36, v36, v20
	v_fma_f16 v20, v19, s4, v17
	v_sub_f16_e32 v32, v22, v23
	v_sub_f16_e32 v37, v30, v13
	;; [unrolled: 1-line block ×3, first 2 shown]
	v_fma_f16 v17, v19, s7, v17
	v_fma_f16 v20, v32, s5, v20
	v_add_f16_e32 v37, v37, v40
	v_fma_f16 v17, v32, s8, v17
	v_add_f16_e32 v14, v25, v30
	v_fma_f16 v20, v37, s6, v20
	v_fma_f16 v17, v37, s6, v17
	v_add_f16_e32 v37, v30, v8
	v_add_f16_e32 v14, v14, v13
	v_fma_f16 v25, v37, -0.5, v25
	v_add_f16_e32 v14, v14, v27
	v_fma_f16 v37, v32, s7, v25
	v_fma_f16 v25, v32, s4, v25
	v_add_f16_e32 v32, v22, v23
	v_add_f16_e32 v14, v14, v8
	v_sub_f16_e32 v40, v13, v30
	v_sub_f16_e32 v41, v27, v8
	v_fma_f16 v32, v32, -0.5, v33
	v_sub_f16_e32 v8, v30, v8
	v_fma_f16 v37, v19, s5, v37
	v_add_f16_e32 v40, v40, v41
	v_fma_f16 v19, v19, s8, v25
	v_fma_f16 v30, v8, s7, v32
	v_sub_f16_e32 v13, v13, v27
	v_fma_f16 v37, v40, s6, v37
	v_fma_f16 v19, v40, s6, v19
	;; [unrolled: 1-line block ×3, first 2 shown]
	v_sub_f16_e32 v30, v21, v22
	v_sub_f16_e32 v40, v24, v23
	v_fma_f16 v32, v8, s4, v32
	v_add_f16_e32 v30, v30, v40
	v_fma_f16 v32, v13, s5, v32
	v_fma_f16 v27, v30, s6, v27
	;; [unrolled: 1-line block ×3, first 2 shown]
	v_add_f16_e32 v32, v21, v24
	v_add_f16_e32 v25, v33, v21
	v_fma_f16 v32, v32, -0.5, v33
	v_add_f16_e32 v25, v25, v22
	v_fma_f16 v33, v13, s4, v32
	v_fma_f16 v13, v13, s7, v32
	v_add_f16_e32 v25, v25, v23
	v_fma_f16 v33, v8, s8, v33
	v_fma_f16 v8, v8, s5, v13
	v_pack_b32_f16 v13, v34, v36
	v_pack_b32_f16 v6, v29, v6
	v_add_f16_e32 v25, v25, v24
	v_sub_f16_e32 v21, v22, v21
	v_sub_f16_e32 v22, v23, v24
	ds_write_b32 v0, v13
	v_pack_b32_f16 v13, v39, v28
	ds_write_b32 v0, v6 offset:4200
	v_pack_b32_f16 v6, v35, v31
	v_add_f16_e32 v21, v21, v22
	ds_write_b32 v0, v13 offset:1400
	v_pack_b32_f16 v13, v38, v18
	ds_write_b32 v0, v6 offset:5600
	v_pack_b32_f16 v6, v14, v25
	v_fma_f16 v22, v21, s6, v33
	ds_write_b32 v0, v13 offset:2800
	ds_write_b32 v26, v6
	v_pack_b32_f16 v6, v20, v27
	v_fma_f16 v8, v21, s6, v8
	ds_write_b32 v26, v6 offset:1400
	v_pack_b32_f16 v6, v37, v22
	ds_write_b32 v26, v6 offset:2800
	v_pack_b32_f16 v6, v19, v8
	;; [unrolled: 2-line block ×3, first 2 shown]
	ds_write_b32 v26, v6 offset:5600
	s_waitcnt lgkmcnt(0)
	s_barrier
	ds_read_b32 v8, v0
	s_add_u32 s6, s12, 0x1b50
	s_addc_u32 s7, s13, 0
	v_sub_u32_e32 v17, 0, v11
                                        ; implicit-def: $vgpr20
                                        ; implicit-def: $vgpr18
                                        ; implicit-def: $vgpr19
                                        ; implicit-def: $vgpr13_vgpr14
	s_and_saveexec_b64 s[4:5], vcc
	s_xor_b64 s[4:5], exec, s[4:5]
	s_cbranch_execz .LBB0_19
; %bb.18:
	v_mov_b32_e32 v6, v12
	v_lshlrev_b64 v[11:12], 2, v[5:6]
	v_mov_b32_e32 v13, s7
	v_add_co_u32_e32 v11, vcc, s6, v11
	v_addc_co_u32_e32 v12, vcc, v13, v12, vcc
	global_load_dword v11, v[11:12], off
	ds_read_b32 v12, v17 offset:7000
	s_mov_b32 s8, 0xffff
	s_waitcnt lgkmcnt(0)
	v_pk_add_f16 v13, v8, v12 neg_lo:[0,1] neg_hi:[0,1]
	v_pk_add_f16 v8, v12, v8
	v_bfi_b32 v12, s8, v13, v8
	v_pk_mul_f16 v12, v12, 0.5 op_sel_hi:[1,0]
	v_bfi_b32 v8, s8, v8, v13
	v_pk_mul_f16 v13, v8, 0.5 op_sel_hi:[1,0]
	s_waitcnt vmcnt(0)
	v_pk_mul_f16 v14, v11, v12 op_sel:[1,0]
	v_pk_mul_f16 v11, v11, v12 op_sel_hi:[0,1]
	v_pk_fma_f16 v8, v8, 0.5, v14 op_sel_hi:[1,0,1]
	v_sub_f16_e32 v12, v13, v14
	v_sub_f16_sdwa v13, v14, v13 dst_sel:DWORD dst_unused:UNUSED_PAD src0_sel:WORD_1 src1_sel:WORD_1
	v_pk_add_f16 v14, v8, v11 op_sel:[0,1] op_sel_hi:[1,0]
	v_pk_add_f16 v8, v8, v11 op_sel:[0,1] op_sel_hi:[1,0] neg_lo:[0,1] neg_hi:[0,1]
	v_sub_f16_e32 v19, v13, v11
	v_bfi_b32 v20, s8, v14, v8
	v_mov_b32_e32 v14, v6
	v_sub_f16_sdwa v18, v12, v11 dst_sel:DWORD dst_unused:UNUSED_PAD src0_sel:DWORD src1_sel:WORD_1
	v_mov_b32_e32 v13, v5
                                        ; implicit-def: $vgpr8
.LBB0_19:
	s_andn2_saveexec_b64 s[4:5], s[4:5]
	s_cbranch_execz .LBB0_21
; %bb.20:
	v_mov_b32_e32 v19, 0
	ds_read_u16 v6, v19 offset:3502
	s_waitcnt lgkmcnt(1)
	v_alignbit_b32 v11, s0, v8, 16
	v_sub_f16_sdwa v18, v8, v8 dst_sel:DWORD dst_unused:UNUSED_PAD src0_sel:DWORD src1_sel:WORD_1
	v_mov_b32_e32 v13, 0
	v_pk_add_f16 v8, v11, v8
	v_mov_b32_e32 v14, 0
	s_waitcnt lgkmcnt(0)
	v_xor_b32_e32 v6, 0x8000, v6
	v_pack_b32_f16 v20, v8, 0
	ds_write_b16 v19, v6 offset:3502
.LBB0_21:
	s_or_b64 exec, exec, s[4:5]
	s_waitcnt lgkmcnt(0)
	v_mov_b32_e32 v8, 0
	v_lshlrev_b64 v[6:7], 2, v[7:8]
	v_mov_b32_e32 v11, s7
	v_add_co_u32_e32 v6, vcc, s6, v6
	v_addc_co_u32_e32 v7, vcc, v11, v7, vcc
	global_load_dword v12, v[6:7], off
	v_mov_b32_e32 v11, v8
	v_lshlrev_b64 v[6:7], 2, v[10:11]
	v_mov_b32_e32 v21, s7
	v_add_co_u32_e32 v6, vcc, s6, v6
	v_addc_co_u32_e32 v7, vcc, v21, v7, vcc
	global_load_dword v11, v[6:7], off
	v_lshlrev_b64 v[6:7], 2, v[13:14]
	v_mov_b32_e32 v10, s7
	v_add_co_u32_e32 v6, vcc, s6, v6
	v_addc_co_u32_e32 v7, vcc, v10, v7, vcc
	global_load_dword v13, v[6:7], off offset:2100
	v_mov_b32_e32 v10, v8
	v_lshlrev_b64 v[6:7], 2, v[9:10]
	v_mov_b32_e32 v14, s7
	v_add_co_u32_e32 v6, vcc, s6, v6
	ds_write_b16 v17, v19 offset:7002
	ds_write_b32 v0, v20
	ds_write_b16 v17, v18 offset:7000
	v_addc_co_u32_e32 v7, vcc, v14, v7, vcc
	ds_read_b32 v18, v26
	ds_read_b32 v19, v17 offset:6300
	global_load_dword v6, v[6:7], off
	s_mov_b32 s4, 0xffff
	s_waitcnt lgkmcnt(0)
	v_pk_add_f16 v7, v18, v19 neg_lo:[0,1] neg_hi:[0,1]
	v_pk_add_f16 v9, v18, v19
	v_bfi_b32 v10, s4, v7, v9
	v_bfi_b32 v7, s4, v9, v7
	v_pk_mul_f16 v9, v10, 0.5 op_sel_hi:[1,0]
	v_pk_mul_f16 v7, v7, 0.5 op_sel_hi:[1,0]
	s_waitcnt vmcnt(3)
	v_pk_fma_f16 v10, v12, v9, v7 op_sel:[1,0,0]
	v_pk_mul_f16 v14, v12, v9 op_sel_hi:[0,1]
	v_pk_fma_f16 v18, v12, v9, v7 op_sel:[1,0,0] neg_lo:[1,0,0] neg_hi:[1,0,0]
	v_pk_fma_f16 v7, v12, v9, v7 op_sel:[1,0,0] neg_lo:[0,0,1] neg_hi:[0,0,1]
	v_pk_add_f16 v9, v10, v14 op_sel:[0,1] op_sel_hi:[1,0]
	v_pk_add_f16 v10, v10, v14 op_sel:[0,1] op_sel_hi:[1,0] neg_lo:[0,1] neg_hi:[0,1]
	v_pk_add_f16 v12, v18, v14 op_sel:[0,1] op_sel_hi:[1,0] neg_lo:[0,1] neg_hi:[0,1]
	;; [unrolled: 1-line block ×3, first 2 shown]
	v_bfi_b32 v9, s4, v9, v10
	v_bfi_b32 v7, s4, v12, v7
	ds_write_b32 v26, v9
	ds_write_b32 v17, v7 offset:6300
	ds_read_b32 v7, v16
	ds_read_b32 v9, v17 offset:5600
	s_waitcnt lgkmcnt(0)
	v_pk_add_f16 v10, v7, v9 neg_lo:[0,1] neg_hi:[0,1]
	v_pk_add_f16 v7, v7, v9
	v_bfi_b32 v9, s4, v10, v7
	v_bfi_b32 v7, s4, v7, v10
	v_pk_mul_f16 v9, v9, 0.5 op_sel_hi:[1,0]
	v_pk_mul_f16 v7, v7, 0.5 op_sel_hi:[1,0]
	s_waitcnt vmcnt(2)
	v_pk_fma_f16 v10, v11, v9, v7 op_sel:[1,0,0]
	v_pk_mul_f16 v12, v11, v9 op_sel_hi:[0,1]
	v_pk_fma_f16 v14, v11, v9, v7 op_sel:[1,0,0] neg_lo:[1,0,0] neg_hi:[1,0,0]
	v_pk_fma_f16 v7, v11, v9, v7 op_sel:[1,0,0] neg_lo:[0,0,1] neg_hi:[0,0,1]
	v_pk_add_f16 v9, v10, v12 op_sel:[0,1] op_sel_hi:[1,0]
	v_pk_add_f16 v10, v10, v12 op_sel:[0,1] op_sel_hi:[1,0] neg_lo:[0,1] neg_hi:[0,1]
	v_pk_add_f16 v11, v14, v12 op_sel:[0,1] op_sel_hi:[1,0] neg_lo:[0,1] neg_hi:[0,1]
	;; [unrolled: 1-line block ×3, first 2 shown]
	v_bfi_b32 v9, s4, v9, v10
	v_bfi_b32 v7, s4, v11, v7
	ds_write_b32 v16, v9
	ds_write_b32 v17, v7 offset:5600
	ds_read_b32 v7, v0 offset:2100
	ds_read_b32 v9, v17 offset:4900
	s_waitcnt lgkmcnt(0)
	v_pk_add_f16 v10, v7, v9 neg_lo:[0,1] neg_hi:[0,1]
	v_pk_add_f16 v7, v7, v9
	v_bfi_b32 v9, s4, v10, v7
	v_bfi_b32 v7, s4, v7, v10
	v_pk_mul_f16 v9, v9, 0.5 op_sel_hi:[1,0]
	v_pk_mul_f16 v7, v7, 0.5 op_sel_hi:[1,0]
	s_waitcnt vmcnt(1)
	v_pk_fma_f16 v10, v13, v9, v7 op_sel:[1,0,0]
	v_pk_mul_f16 v11, v13, v9 op_sel_hi:[0,1]
	v_pk_fma_f16 v12, v13, v9, v7 op_sel:[1,0,0] neg_lo:[1,0,0] neg_hi:[1,0,0]
	v_pk_fma_f16 v7, v13, v9, v7 op_sel:[1,0,0] neg_lo:[0,0,1] neg_hi:[0,0,1]
	v_pk_add_f16 v9, v10, v11 op_sel:[0,1] op_sel_hi:[1,0]
	v_pk_add_f16 v10, v10, v11 op_sel:[0,1] op_sel_hi:[1,0] neg_lo:[0,1] neg_hi:[0,1]
	v_pk_add_f16 v12, v12, v11 op_sel:[0,1] op_sel_hi:[1,0] neg_lo:[0,1] neg_hi:[0,1]
	;; [unrolled: 1-line block ×3, first 2 shown]
	v_bfi_b32 v9, s4, v9, v10
	v_bfi_b32 v7, s4, v12, v7
	ds_write_b32 v0, v9 offset:2100
	ds_write_b32 v17, v7 offset:4900
	ds_read_b32 v0, v15
	ds_read_b32 v7, v17 offset:4200
	s_waitcnt lgkmcnt(0)
	v_pk_add_f16 v9, v0, v7 neg_lo:[0,1] neg_hi:[0,1]
	v_pk_add_f16 v0, v0, v7
	v_bfi_b32 v7, s4, v9, v0
	v_bfi_b32 v0, s4, v0, v9
	v_pk_mul_f16 v7, v7, 0.5 op_sel_hi:[1,0]
	v_pk_mul_f16 v0, v0, 0.5 op_sel_hi:[1,0]
	s_waitcnt vmcnt(0)
	v_pk_fma_f16 v9, v6, v7, v0 op_sel:[1,0,0]
	v_pk_mul_f16 v10, v6, v7 op_sel_hi:[0,1]
	v_pk_fma_f16 v11, v6, v7, v0 op_sel:[1,0,0] neg_lo:[1,0,0] neg_hi:[1,0,0]
	v_pk_fma_f16 v0, v6, v7, v0 op_sel:[1,0,0] neg_lo:[0,0,1] neg_hi:[0,0,1]
	v_pk_add_f16 v6, v9, v10 op_sel:[0,1] op_sel_hi:[1,0]
	v_pk_add_f16 v7, v9, v10 op_sel:[0,1] op_sel_hi:[1,0] neg_lo:[0,1] neg_hi:[0,1]
	v_pk_add_f16 v9, v11, v10 op_sel:[0,1] op_sel_hi:[1,0] neg_lo:[0,1] neg_hi:[0,1]
	v_pk_add_f16 v0, v0, v10 op_sel:[0,1] op_sel_hi:[1,0] neg_lo:[0,1] neg_hi:[0,1]
	v_bfi_b32 v6, s4, v6, v7
	v_bfi_b32 v0, s4, v9, v0
	ds_write_b32 v15, v6
	ds_write_b32 v17, v0 offset:4200
	s_waitcnt lgkmcnt(0)
	s_barrier
	s_and_saveexec_b64 s[4:5], s[0:1]
	s_cbranch_execz .LBB0_24
; %bb.22:
	v_mul_lo_u32 v0, s3, v3
	v_mul_lo_u32 v6, s2, v4
	v_mad_u64_u32 v[3:4], s[0:1], s2, v3, 0
	v_lshlrev_b64 v[1:2], 2, v[1:2]
	v_lshl_add_u32 v11, v5, 2, 0
	v_add3_u32 v4, v4, v6, v0
	v_lshlrev_b64 v[3:4], 2, v[3:4]
	v_mov_b32_e32 v0, s11
	v_add_co_u32_e32 v3, vcc, s10, v3
	v_addc_co_u32_e32 v0, vcc, v0, v4, vcc
	v_mov_b32_e32 v6, v8
	ds_read2_b32 v[9:10], v11 offset1:175
	v_add_co_u32_e32 v1, vcc, v3, v1
	v_addc_co_u32_e32 v0, vcc, v0, v2, vcc
	v_lshlrev_b64 v[2:3], 2, v[5:6]
	v_add_u32_e32 v7, 0xaf, v5
	v_add_co_u32_e32 v2, vcc, v1, v2
	v_addc_co_u32_e32 v3, vcc, v0, v3, vcc
	s_waitcnt lgkmcnt(0)
	global_store_dword v[2:3], v9, off
	v_lshlrev_b64 v[2:3], 2, v[7:8]
	v_add_u32_e32 v7, 0x15e, v5
	v_add_co_u32_e32 v2, vcc, v1, v2
	v_addc_co_u32_e32 v3, vcc, v0, v3, vcc
	global_store_dword v[2:3], v10, off
	v_add_u32_e32 v2, 0x500, v11
	ds_read2_b32 v[2:3], v2 offset0:30 offset1:205
	v_lshlrev_b64 v[6:7], 2, v[7:8]
	s_movk_i32 s0, 0xae
	v_add_co_u32_e32 v6, vcc, v1, v6
	v_addc_co_u32_e32 v7, vcc, v0, v7, vcc
	s_waitcnt lgkmcnt(0)
	global_store_dword v[6:7], v2, off
	v_add_u32_e32 v7, 0x20d, v5
	v_lshlrev_b64 v[6:7], 2, v[7:8]
	v_add_u32_e32 v2, 0xa00, v11
	v_add_co_u32_e32 v6, vcc, v1, v6
	v_addc_co_u32_e32 v7, vcc, v0, v7, vcc
	global_store_dword v[6:7], v3, off
	v_add_u32_e32 v7, 0x2bc, v5
	ds_read2_b32 v[2:3], v2 offset0:60 offset1:235
	v_lshlrev_b64 v[6:7], 2, v[7:8]
	v_add_co_u32_e32 v6, vcc, v1, v6
	v_addc_co_u32_e32 v7, vcc, v0, v7, vcc
	s_waitcnt lgkmcnt(0)
	global_store_dword v[6:7], v2, off
	v_add_u32_e32 v7, 0x36b, v5
	v_lshlrev_b64 v[6:7], 2, v[7:8]
	v_add_u32_e32 v2, 0x1000, v11
	v_add_co_u32_e32 v6, vcc, v1, v6
	v_addc_co_u32_e32 v7, vcc, v0, v7, vcc
	global_store_dword v[6:7], v3, off
	v_add_u32_e32 v7, 0x41a, v5
	ds_read2_b32 v[2:3], v2 offset0:26 offset1:201
	v_lshlrev_b64 v[6:7], 2, v[7:8]
	;; [unrolled: 13-line block ×3, first 2 shown]
	v_add_co_u32_e32 v6, vcc, v1, v6
	v_addc_co_u32_e32 v7, vcc, v0, v7, vcc
	s_waitcnt lgkmcnt(0)
	global_store_dword v[6:7], v2, off
	v_add_u32_e32 v7, 0x627, v5
	v_lshlrev_b64 v[6:7], 2, v[7:8]
	v_add_co_u32_e32 v6, vcc, v1, v6
	v_addc_co_u32_e32 v7, vcc, v0, v7, vcc
	v_cmp_eq_u32_e32 vcc, s0, v5
	global_store_dword v[6:7], v3, off
	s_and_b64 exec, exec, vcc
	s_cbranch_execz .LBB0_24
; %bb.23:
	v_mov_b32_e32 v2, 0
	ds_read_b32 v3, v2 offset:7000
	v_add_co_u32_e32 v1, vcc, 0x1000, v1
	v_addc_co_u32_e32 v2, vcc, 0, v0, vcc
	s_waitcnt lgkmcnt(0)
	global_store_dword v[1:2], v3, off offset:2904
.LBB0_24:
	s_endpgm
	.section	.rodata,"a",@progbits
	.p2align	6, 0x0
	.amdhsa_kernel fft_rtc_back_len1750_factors_2_5_5_7_5_wgs_175_tpt_175_halfLds_half_op_CI_CI_unitstride_sbrr_R2C_dirReg
		.amdhsa_group_segment_fixed_size 0
		.amdhsa_private_segment_fixed_size 0
		.amdhsa_kernarg_size 104
		.amdhsa_user_sgpr_count 6
		.amdhsa_user_sgpr_private_segment_buffer 1
		.amdhsa_user_sgpr_dispatch_ptr 0
		.amdhsa_user_sgpr_queue_ptr 0
		.amdhsa_user_sgpr_kernarg_segment_ptr 1
		.amdhsa_user_sgpr_dispatch_id 0
		.amdhsa_user_sgpr_flat_scratch_init 0
		.amdhsa_user_sgpr_private_segment_size 0
		.amdhsa_uses_dynamic_stack 0
		.amdhsa_system_sgpr_private_segment_wavefront_offset 0
		.amdhsa_system_sgpr_workgroup_id_x 1
		.amdhsa_system_sgpr_workgroup_id_y 0
		.amdhsa_system_sgpr_workgroup_id_z 0
		.amdhsa_system_sgpr_workgroup_info 0
		.amdhsa_system_vgpr_workitem_id 0
		.amdhsa_next_free_vgpr 58
		.amdhsa_next_free_sgpr 28
		.amdhsa_reserve_vcc 1
		.amdhsa_reserve_flat_scratch 0
		.amdhsa_float_round_mode_32 0
		.amdhsa_float_round_mode_16_64 0
		.amdhsa_float_denorm_mode_32 3
		.amdhsa_float_denorm_mode_16_64 3
		.amdhsa_dx10_clamp 1
		.amdhsa_ieee_mode 1
		.amdhsa_fp16_overflow 0
		.amdhsa_exception_fp_ieee_invalid_op 0
		.amdhsa_exception_fp_denorm_src 0
		.amdhsa_exception_fp_ieee_div_zero 0
		.amdhsa_exception_fp_ieee_overflow 0
		.amdhsa_exception_fp_ieee_underflow 0
		.amdhsa_exception_fp_ieee_inexact 0
		.amdhsa_exception_int_div_zero 0
	.end_amdhsa_kernel
	.text
.Lfunc_end0:
	.size	fft_rtc_back_len1750_factors_2_5_5_7_5_wgs_175_tpt_175_halfLds_half_op_CI_CI_unitstride_sbrr_R2C_dirReg, .Lfunc_end0-fft_rtc_back_len1750_factors_2_5_5_7_5_wgs_175_tpt_175_halfLds_half_op_CI_CI_unitstride_sbrr_R2C_dirReg
                                        ; -- End function
	.section	.AMDGPU.csdata,"",@progbits
; Kernel info:
; codeLenInByte = 9400
; NumSgprs: 32
; NumVgprs: 58
; ScratchSize: 0
; MemoryBound: 0
; FloatMode: 240
; IeeeMode: 1
; LDSByteSize: 0 bytes/workgroup (compile time only)
; SGPRBlocks: 3
; VGPRBlocks: 14
; NumSGPRsForWavesPerEU: 32
; NumVGPRsForWavesPerEU: 58
; Occupancy: 4
; WaveLimiterHint : 1
; COMPUTE_PGM_RSRC2:SCRATCH_EN: 0
; COMPUTE_PGM_RSRC2:USER_SGPR: 6
; COMPUTE_PGM_RSRC2:TRAP_HANDLER: 0
; COMPUTE_PGM_RSRC2:TGID_X_EN: 1
; COMPUTE_PGM_RSRC2:TGID_Y_EN: 0
; COMPUTE_PGM_RSRC2:TGID_Z_EN: 0
; COMPUTE_PGM_RSRC2:TIDIG_COMP_CNT: 0
	.type	__hip_cuid_7da0fea4da2e367e,@object ; @__hip_cuid_7da0fea4da2e367e
	.section	.bss,"aw",@nobits
	.globl	__hip_cuid_7da0fea4da2e367e
__hip_cuid_7da0fea4da2e367e:
	.byte	0                               ; 0x0
	.size	__hip_cuid_7da0fea4da2e367e, 1

	.ident	"AMD clang version 19.0.0git (https://github.com/RadeonOpenCompute/llvm-project roc-6.4.0 25133 c7fe45cf4b819c5991fe208aaa96edf142730f1d)"
	.section	".note.GNU-stack","",@progbits
	.addrsig
	.addrsig_sym __hip_cuid_7da0fea4da2e367e
	.amdgpu_metadata
---
amdhsa.kernels:
  - .args:
      - .actual_access:  read_only
        .address_space:  global
        .offset:         0
        .size:           8
        .value_kind:     global_buffer
      - .offset:         8
        .size:           8
        .value_kind:     by_value
      - .actual_access:  read_only
        .address_space:  global
        .offset:         16
        .size:           8
        .value_kind:     global_buffer
      - .actual_access:  read_only
        .address_space:  global
        .offset:         24
        .size:           8
        .value_kind:     global_buffer
      - .actual_access:  read_only
        .address_space:  global
        .offset:         32
        .size:           8
        .value_kind:     global_buffer
      - .offset:         40
        .size:           8
        .value_kind:     by_value
      - .actual_access:  read_only
        .address_space:  global
        .offset:         48
        .size:           8
        .value_kind:     global_buffer
      - .actual_access:  read_only
        .address_space:  global
        .offset:         56
        .size:           8
        .value_kind:     global_buffer
      - .offset:         64
        .size:           4
        .value_kind:     by_value
      - .actual_access:  read_only
        .address_space:  global
        .offset:         72
        .size:           8
        .value_kind:     global_buffer
      - .actual_access:  read_only
        .address_space:  global
        .offset:         80
        .size:           8
        .value_kind:     global_buffer
      - .actual_access:  read_only
        .address_space:  global
        .offset:         88
        .size:           8
        .value_kind:     global_buffer
      - .actual_access:  write_only
        .address_space:  global
        .offset:         96
        .size:           8
        .value_kind:     global_buffer
    .group_segment_fixed_size: 0
    .kernarg_segment_align: 8
    .kernarg_segment_size: 104
    .language:       OpenCL C
    .language_version:
      - 2
      - 0
    .max_flat_workgroup_size: 175
    .name:           fft_rtc_back_len1750_factors_2_5_5_7_5_wgs_175_tpt_175_halfLds_half_op_CI_CI_unitstride_sbrr_R2C_dirReg
    .private_segment_fixed_size: 0
    .sgpr_count:     32
    .sgpr_spill_count: 0
    .symbol:         fft_rtc_back_len1750_factors_2_5_5_7_5_wgs_175_tpt_175_halfLds_half_op_CI_CI_unitstride_sbrr_R2C_dirReg.kd
    .uniform_work_group_size: 1
    .uses_dynamic_stack: false
    .vgpr_count:     58
    .vgpr_spill_count: 0
    .wavefront_size: 64
amdhsa.target:   amdgcn-amd-amdhsa--gfx906
amdhsa.version:
  - 1
  - 2
...

	.end_amdgpu_metadata
